;; amdgpu-corpus repo=zjin-lcf/HeCBench kind=compiled arch=gfx906 opt=O3
	.amdgcn_target "amdgcn-amd-amdhsa--gfx906"
	.amdhsa_code_object_version 6
	.text
	.protected	_Z15computeDistancePK15HIP_vector_typeIfLj2EES2_Pfii ; -- Begin function _Z15computeDistancePK15HIP_vector_typeIfLj2EES2_Pfii
	.globl	_Z15computeDistancePK15HIP_vector_typeIfLj2EES2_Pfii
	.p2align	8
	.type	_Z15computeDistancePK15HIP_vector_typeIfLj2EES2_Pfii,@function
_Z15computeDistancePK15HIP_vector_typeIfLj2EES2_Pfii: ; @_Z15computeDistancePK15HIP_vector_typeIfLj2EES2_Pfii
; %bb.0:
	s_load_dword s0, s[4:5], 0x2c
	s_load_dwordx2 s[2:3], s[4:5], 0x18
	s_waitcnt lgkmcnt(0)
	s_and_b32 s0, s0, 0xffff
	s_mul_i32 s6, s6, s0
	v_add_u32_e32 v0, s6, v0
	v_cmp_gt_i32_e32 vcc, s2, v0
	s_and_saveexec_b64 s[0:1], vcc
	s_cbranch_execz .LBB0_10
; %bb.1:
	s_load_dwordx2 s[0:1], s[4:5], 0x10
	s_cmp_lt_i32 s3, 1
	s_cbranch_scc1 .LBB0_4
; %bb.2:
	s_load_dwordx4 s[4:7], s[4:5], 0x0
	v_ashrrev_i32_e32 v1, 31, v0
	v_lshlrev_b64 v[0:1], 3, v[0:1]
	s_waitcnt lgkmcnt(0)
	v_mov_b32_e32 v2, s5
	v_add_co_u32_e32 v0, vcc, s4, v0
	v_addc_co_u32_e32 v1, vcc, v2, v1, vcc
	global_load_dwordx2 v[0:1], v[0:1], off
	s_add_u32 s2, s6, 4
	s_addc_u32 s4, s7, 0
	v_mov_b32_e32 v2, 0x7f7fffff
.LBB0_3:                                ; =>This Inner Loop Header: Depth=1
	s_add_u32 s6, s2, -4
	s_addc_u32 s7, s4, -1
	s_load_dwordx2 s[6:7], s[6:7], 0x0
	s_add_i32 s3, s3, -1
	s_add_u32 s2, s2, 8
	s_addc_u32 s4, s4, 0
	s_cmp_eq_u32 s3, 0
	s_waitcnt vmcnt(0) lgkmcnt(0)
	v_subrev_f32_e32 v4, s7, v1
	v_subrev_f32_e32 v3, s6, v0
	v_mul_f32_e32 v4, v4, v4
	v_fmac_f32_e32 v4, v3, v3
	v_cmp_lt_f32_e32 vcc, v2, v4
	v_cndmask_b32_e32 v2, v4, v2, vcc
	s_cbranch_scc0 .LBB0_3
	s_branch .LBB0_5
.LBB0_4:
	v_mov_b32_e32 v2, 0x7f7fffff
.LBB0_5:
	s_mov_b64 s[2:3], exec
	v_mov_b32_e32 v0, 0x7fc00000
.LBB0_6:                                ; =>This Inner Loop Header: Depth=1
	s_ff1_i32_b64 s4, s[2:3]
	v_readlane_b32 s6, v2, s4
	s_lshl_b64 s[4:5], 1, s4
	v_max_f32_e32 v0, v0, v0
	v_max_f32_e64 v1, s6, s6
	s_andn2_b64 s[2:3], s[2:3], s[4:5]
	s_cmp_lg_u64 s[2:3], 0
	v_max_f32_e32 v0, v0, v1
	s_cbranch_scc1 .LBB0_6
; %bb.7:
	v_mbcnt_lo_u32_b32 v1, exec_lo, 0
	v_mbcnt_hi_u32_b32 v1, exec_hi, v1
	v_cmp_eq_u32_e32 vcc, 0, v1
	s_and_saveexec_b64 s[2:3], vcc
	s_xor_b64 s[2:3], exec, s[2:3]
	s_cbranch_execz .LBB0_10
; %bb.8:
	s_waitcnt lgkmcnt(0)
	s_load_dword s4, s[0:1], 0x0
	s_mov_b64 s[2:3], 0
	v_max_f32_e32 v2, v0, v0
	v_mov_b32_e32 v3, 0
	s_waitcnt lgkmcnt(0)
	v_mov_b32_e32 v1, s4
.LBB0_9:                                ; =>This Inner Loop Header: Depth=1
	v_max_f32_e32 v0, v1, v1
	v_max_f32_e32 v0, v0, v2
	global_atomic_cmpswap v0, v3, v[0:1], s[0:1] glc
	s_waitcnt vmcnt(0)
	v_cmp_eq_u32_e32 vcc, v0, v1
	s_or_b64 s[2:3], vcc, s[2:3]
	v_mov_b32_e32 v1, v0
	s_andn2_b64 exec, exec, s[2:3]
	s_cbranch_execnz .LBB0_9
.LBB0_10:
	s_endpgm
	.section	.rodata,"a",@progbits
	.p2align	6, 0x0
	.amdhsa_kernel _Z15computeDistancePK15HIP_vector_typeIfLj2EES2_Pfii
		.amdhsa_group_segment_fixed_size 0
		.amdhsa_private_segment_fixed_size 0
		.amdhsa_kernarg_size 288
		.amdhsa_user_sgpr_count 6
		.amdhsa_user_sgpr_private_segment_buffer 1
		.amdhsa_user_sgpr_dispatch_ptr 0
		.amdhsa_user_sgpr_queue_ptr 0
		.amdhsa_user_sgpr_kernarg_segment_ptr 1
		.amdhsa_user_sgpr_dispatch_id 0
		.amdhsa_user_sgpr_flat_scratch_init 0
		.amdhsa_user_sgpr_private_segment_size 0
		.amdhsa_uses_dynamic_stack 0
		.amdhsa_system_sgpr_private_segment_wavefront_offset 0
		.amdhsa_system_sgpr_workgroup_id_x 1
		.amdhsa_system_sgpr_workgroup_id_y 0
		.amdhsa_system_sgpr_workgroup_id_z 0
		.amdhsa_system_sgpr_workgroup_info 0
		.amdhsa_system_vgpr_workitem_id 0
		.amdhsa_next_free_vgpr 5
		.amdhsa_next_free_sgpr 8
		.amdhsa_reserve_vcc 1
		.amdhsa_reserve_flat_scratch 0
		.amdhsa_float_round_mode_32 0
		.amdhsa_float_round_mode_16_64 0
		.amdhsa_float_denorm_mode_32 3
		.amdhsa_float_denorm_mode_16_64 3
		.amdhsa_dx10_clamp 1
		.amdhsa_ieee_mode 1
		.amdhsa_fp16_overflow 0
		.amdhsa_exception_fp_ieee_invalid_op 0
		.amdhsa_exception_fp_denorm_src 0
		.amdhsa_exception_fp_ieee_div_zero 0
		.amdhsa_exception_fp_ieee_overflow 0
		.amdhsa_exception_fp_ieee_underflow 0
		.amdhsa_exception_fp_ieee_inexact 0
		.amdhsa_exception_int_div_zero 0
	.end_amdhsa_kernel
	.text
.Lfunc_end0:
	.size	_Z15computeDistancePK15HIP_vector_typeIfLj2EES2_Pfii, .Lfunc_end0-_Z15computeDistancePK15HIP_vector_typeIfLj2EES2_Pfii
                                        ; -- End function
	.set _Z15computeDistancePK15HIP_vector_typeIfLj2EES2_Pfii.num_vgpr, 5
	.set _Z15computeDistancePK15HIP_vector_typeIfLj2EES2_Pfii.num_agpr, 0
	.set _Z15computeDistancePK15HIP_vector_typeIfLj2EES2_Pfii.numbered_sgpr, 8
	.set _Z15computeDistancePK15HIP_vector_typeIfLj2EES2_Pfii.num_named_barrier, 0
	.set _Z15computeDistancePK15HIP_vector_typeIfLj2EES2_Pfii.private_seg_size, 0
	.set _Z15computeDistancePK15HIP_vector_typeIfLj2EES2_Pfii.uses_vcc, 1
	.set _Z15computeDistancePK15HIP_vector_typeIfLj2EES2_Pfii.uses_flat_scratch, 0
	.set _Z15computeDistancePK15HIP_vector_typeIfLj2EES2_Pfii.has_dyn_sized_stack, 0
	.set _Z15computeDistancePK15HIP_vector_typeIfLj2EES2_Pfii.has_recursion, 0
	.set _Z15computeDistancePK15HIP_vector_typeIfLj2EES2_Pfii.has_indirect_call, 0
	.section	.AMDGPU.csdata,"",@progbits
; Kernel info:
; codeLenInByte = 364
; TotalNumSgprs: 12
; NumVgprs: 5
; ScratchSize: 0
; MemoryBound: 0
; FloatMode: 240
; IeeeMode: 1
; LDSByteSize: 0 bytes/workgroup (compile time only)
; SGPRBlocks: 1
; VGPRBlocks: 1
; NumSGPRsForWavesPerEU: 12
; NumVGPRsForWavesPerEU: 5
; Occupancy: 10
; WaveLimiterHint : 0
; COMPUTE_PGM_RSRC2:SCRATCH_EN: 0
; COMPUTE_PGM_RSRC2:USER_SGPR: 6
; COMPUTE_PGM_RSRC2:TRAP_HANDLER: 0
; COMPUTE_PGM_RSRC2:TGID_X_EN: 1
; COMPUTE_PGM_RSRC2:TGID_Y_EN: 0
; COMPUTE_PGM_RSRC2:TGID_Z_EN: 0
; COMPUTE_PGM_RSRC2:TIDIG_COMP_CNT: 0
	.section	.AMDGPU.gpr_maximums,"",@progbits
	.set amdgpu.max_num_vgpr, 0
	.set amdgpu.max_num_agpr, 0
	.set amdgpu.max_num_sgpr, 0
	.section	.AMDGPU.csdata,"",@progbits
	.type	__hip_cuid_bb7e4ff94cfef36f,@object ; @__hip_cuid_bb7e4ff94cfef36f
	.section	.bss,"aw",@nobits
	.globl	__hip_cuid_bb7e4ff94cfef36f
__hip_cuid_bb7e4ff94cfef36f:
	.byte	0                               ; 0x0
	.size	__hip_cuid_bb7e4ff94cfef36f, 1

	.ident	"AMD clang version 22.0.0git (https://github.com/RadeonOpenCompute/llvm-project roc-7.2.4 26084 f58b06dce1f9c15707c5f808fd002e18c2accf7e)"
	.section	".note.GNU-stack","",@progbits
	.addrsig
	.addrsig_sym __hip_cuid_bb7e4ff94cfef36f
	.amdgpu_metadata
---
amdhsa.kernels:
  - .args:
      - .actual_access:  read_only
        .address_space:  global
        .offset:         0
        .size:           8
        .value_kind:     global_buffer
      - .actual_access:  read_only
        .address_space:  global
        .offset:         8
        .size:           8
        .value_kind:     global_buffer
      - .address_space:  global
        .offset:         16
        .size:           8
        .value_kind:     global_buffer
      - .offset:         24
        .size:           4
        .value_kind:     by_value
      - .offset:         28
        .size:           4
        .value_kind:     by_value
      - .offset:         32
        .size:           4
        .value_kind:     hidden_block_count_x
      - .offset:         36
        .size:           4
        .value_kind:     hidden_block_count_y
      - .offset:         40
        .size:           4
        .value_kind:     hidden_block_count_z
      - .offset:         44
        .size:           2
        .value_kind:     hidden_group_size_x
      - .offset:         46
        .size:           2
        .value_kind:     hidden_group_size_y
      - .offset:         48
        .size:           2
        .value_kind:     hidden_group_size_z
      - .offset:         50
        .size:           2
        .value_kind:     hidden_remainder_x
      - .offset:         52
        .size:           2
        .value_kind:     hidden_remainder_y
      - .offset:         54
        .size:           2
        .value_kind:     hidden_remainder_z
      - .offset:         72
        .size:           8
        .value_kind:     hidden_global_offset_x
      - .offset:         80
        .size:           8
        .value_kind:     hidden_global_offset_y
      - .offset:         88
        .size:           8
        .value_kind:     hidden_global_offset_z
      - .offset:         96
        .size:           2
        .value_kind:     hidden_grid_dims
    .group_segment_fixed_size: 0
    .kernarg_segment_align: 8
    .kernarg_segment_size: 288
    .language:       OpenCL C
    .language_version:
      - 2
      - 0
    .max_flat_workgroup_size: 1024
    .name:           _Z15computeDistancePK15HIP_vector_typeIfLj2EES2_Pfii
    .private_segment_fixed_size: 0
    .sgpr_count:     12
    .sgpr_spill_count: 0
    .symbol:         _Z15computeDistancePK15HIP_vector_typeIfLj2EES2_Pfii.kd
    .uniform_work_group_size: 1
    .uses_dynamic_stack: false
    .vgpr_count:     5
    .vgpr_spill_count: 0
    .wavefront_size: 64
amdhsa.target:   amdgcn-amd-amdhsa--gfx906
amdhsa.version:
  - 1
  - 2
...

	.end_amdgpu_metadata
